;; amdgpu-corpus repo=ROCm/rocFFT kind=compiled arch=gfx906 opt=O3
	.text
	.amdgcn_target "amdgcn-amd-amdhsa--gfx906"
	.amdhsa_code_object_version 6
	.protected	fft_rtc_back_len84_factors_7_2_6_wgs_336_tpt_14_dp_op_CI_CI_sbcc_dirReg_intrinsicReadWrite ; -- Begin function fft_rtc_back_len84_factors_7_2_6_wgs_336_tpt_14_dp_op_CI_CI_sbcc_dirReg_intrinsicReadWrite
	.globl	fft_rtc_back_len84_factors_7_2_6_wgs_336_tpt_14_dp_op_CI_CI_sbcc_dirReg_intrinsicReadWrite
	.p2align	8
	.type	fft_rtc_back_len84_factors_7_2_6_wgs_336_tpt_14_dp_op_CI_CI_sbcc_dirReg_intrinsicReadWrite,@function
fft_rtc_back_len84_factors_7_2_6_wgs_336_tpt_14_dp_op_CI_CI_sbcc_dirReg_intrinsicReadWrite: ; @fft_rtc_back_len84_factors_7_2_6_wgs_336_tpt_14_dp_op_CI_CI_sbcc_dirReg_intrinsicReadWrite
; %bb.0:
	s_load_dwordx4 s[0:3], s[4:5], 0x18
	s_load_dwordx2 s[18:19], s[4:5], 0x28
	s_mov_b32 s7, 0
	s_mov_b64 s[24:25], 0
	s_waitcnt lgkmcnt(0)
	s_load_dwordx2 s[16:17], s[0:1], 0x8
	s_waitcnt lgkmcnt(0)
	s_add_u32 s8, s16, -1
	s_addc_u32 s9, s17, -1
	s_add_u32 s10, 0, 0xaaaa0000
	s_addc_u32 s11, 0, 42
	s_mul_hi_u32 s13, s10, 0xffffffe8
	s_add_i32 s11, s11, 0xaaaaa80
	s_sub_i32 s13, s13, s10
	s_mul_i32 s20, s11, 0xffffffe8
	s_mul_i32 s12, s10, 0xffffffe8
	s_add_i32 s13, s13, s20
	s_mul_hi_u32 s14, s11, s12
	s_mul_i32 s15, s11, s12
	s_mul_i32 s21, s10, s13
	s_mul_hi_u32 s12, s10, s12
	s_mul_hi_u32 s20, s10, s13
	s_add_u32 s12, s12, s21
	s_addc_u32 s20, 0, s20
	s_add_u32 s12, s12, s15
	s_mul_hi_u32 s21, s11, s13
	s_addc_u32 s12, s20, s14
	s_addc_u32 s14, s21, 0
	s_mul_i32 s13, s11, s13
	s_add_u32 s12, s12, s13
	v_mov_b32_e32 v1, s12
	s_addc_u32 s13, 0, s14
	v_add_co_u32_e32 v1, vcc, s10, v1
	s_cmp_lg_u64 vcc, 0
	s_addc_u32 s10, s11, s13
	v_readfirstlane_b32 s13, v1
	s_mul_i32 s12, s8, s10
	s_mul_hi_u32 s14, s8, s13
	s_mul_hi_u32 s11, s8, s10
	s_add_u32 s12, s14, s12
	s_addc_u32 s11, 0, s11
	s_mul_hi_u32 s15, s9, s13
	s_mul_i32 s13, s9, s13
	s_add_u32 s12, s12, s13
	s_mul_hi_u32 s14, s9, s10
	s_addc_u32 s11, s11, s15
	s_addc_u32 s12, s14, 0
	s_mul_i32 s10, s9, s10
	s_add_u32 s10, s11, s10
	s_addc_u32 s11, 0, s12
	s_add_u32 s12, s10, 1
	s_addc_u32 s13, s11, 0
	s_add_u32 s14, s10, 2
	s_mul_i32 s20, s11, 24
	s_mul_hi_u32 s21, s10, 24
	s_addc_u32 s15, s11, 0
	s_add_i32 s21, s21, s20
	s_mul_i32 s20, s10, 24
	v_mov_b32_e32 v1, s20
	v_sub_co_u32_e32 v1, vcc, s8, v1
	s_cmp_lg_u64 vcc, 0
	s_subb_u32 s8, s9, s21
	v_subrev_co_u32_e32 v2, vcc, 24, v1
	s_cmp_lg_u64 vcc, 0
	s_subb_u32 s9, s8, 0
	v_readfirstlane_b32 s20, v2
	s_cmp_gt_u32 s20, 23
	s_cselect_b32 s20, -1, 0
	s_cmp_eq_u32 s9, 0
	s_cselect_b32 s9, s20, -1
	s_cmp_lg_u32 s9, 0
	s_cselect_b32 s9, s14, s12
	s_cselect_b32 s12, s15, s13
	v_readfirstlane_b32 s13, v1
	s_cmp_gt_u32 s13, 23
	s_cselect_b32 s13, -1, 0
	s_cmp_eq_u32 s8, 0
	s_cselect_b32 s8, s13, -1
	s_cmp_lg_u32 s8, 0
	s_cselect_b32 s9, s9, s10
	s_cselect_b32 s8, s12, s11
	s_add_u32 s28, s9, 1
	s_addc_u32 s29, s8, 0
	v_mov_b32_e32 v1, s28
	v_mov_b32_e32 v2, s29
	v_cmp_lt_u64_e32 vcc, s[6:7], v[1:2]
	s_cbranch_vccnz .LBB0_2
; %bb.1:
	v_cvt_f32_u32_e32 v1, s28
	s_sub_i32 s8, 0, s28
	s_mov_b32 s25, s7
	v_rcp_iflag_f32_e32 v1, v1
	v_mul_f32_e32 v1, 0x4f7ffffe, v1
	v_cvt_u32_f32_e32 v1, v1
	v_readfirstlane_b32 s9, v1
	s_mul_i32 s8, s8, s9
	s_mul_hi_u32 s8, s9, s8
	s_add_i32 s9, s9, s8
	s_mul_hi_u32 s8, s6, s9
	s_mul_i32 s10, s8, s28
	s_sub_i32 s10, s6, s10
	s_add_i32 s9, s8, 1
	s_sub_i32 s11, s10, s28
	s_cmp_ge_u32 s10, s28
	s_cselect_b32 s8, s9, s8
	s_cselect_b32 s10, s11, s10
	s_add_i32 s9, s8, 1
	s_cmp_ge_u32 s10, s28
	s_cselect_b32 s24, s9, s8
.LBB0_2:
	s_load_dwordx4 s[12:15], s[4:5], 0x60
	s_load_dwordx4 s[20:23], s[2:3], 0x0
	;; [unrolled: 1-line block ×3, first 2 shown]
	s_load_dwordx2 s[26:27], s[4:5], 0x0
	s_load_dwordx2 s[30:31], s[4:5], 0x10
	s_mul_i32 s4, s24, s29
	s_mul_hi_u32 s5, s24, s28
	s_add_i32 s5, s5, s4
	s_mul_i32 s4, s24, s28
	s_sub_u32 s33, s6, s4
	s_subb_u32 s4, 0, s5
	s_mul_i32 s4, s4, 24
	s_waitcnt lgkmcnt(0)
	s_mul_hi_u32 s21, s33, 24
	s_add_i32 s21, s21, s4
	s_mul_i32 s33, s33, 24
	s_mul_i32 s4, s22, s21
	s_mul_hi_u32 s5, s22, s33
	s_add_i32 s4, s5, s4
	s_mul_i32 s5, s23, s33
	s_add_i32 s46, s4, s5
	s_mul_i32 s4, s10, s21
	s_mul_hi_u32 s5, s10, s33
	s_add_i32 s4, s5, s4
	s_mul_i32 s5, s11, s33
	s_add_i32 s11, s4, s5
	v_cmp_lt_u64_e64 s[4:5], s[30:31], 3
	s_mul_i32 s23, s22, s33
	s_mul_i32 s9, s10, s33
	s_and_b64 vcc, exec, s[4:5]
	s_cbranch_vccnz .LBB0_12
; %bb.3:
	s_add_u32 s4, s18, 16
	s_addc_u32 s5, s19, 0
	s_add_u32 s34, s2, 16
	s_addc_u32 s35, s3, 0
	s_add_u32 s36, s0, 16
	v_mov_b32_e32 v1, s30
	s_addc_u32 s37, s1, 0
	s_mov_b64 s[38:39], 2
	s_mov_b32 s40, 0
	v_mov_b32_e32 v2, s31
.LBB0_4:                                ; =>This Inner Loop Header: Depth=1
	s_load_dwordx2 s[42:43], s[36:37], 0x0
	s_waitcnt lgkmcnt(0)
	s_or_b64 s[0:1], s[24:25], s[42:43]
	s_mov_b32 s41, s1
	s_cmp_lg_u64 s[40:41], 0
	s_cbranch_scc0 .LBB0_9
; %bb.5:                                ;   in Loop: Header=BB0_4 Depth=1
	v_cvt_f32_u32_e32 v3, s42
	v_cvt_f32_u32_e32 v4, s43
	s_sub_u32 s0, 0, s42
	s_subb_u32 s1, 0, s43
	v_mac_f32_e32 v3, 0x4f800000, v4
	v_rcp_f32_e32 v3, v3
	v_mul_f32_e32 v3, 0x5f7ffffc, v3
	v_mul_f32_e32 v4, 0x2f800000, v3
	v_trunc_f32_e32 v4, v4
	v_mac_f32_e32 v3, 0xcf800000, v4
	v_cvt_u32_f32_e32 v4, v4
	v_cvt_u32_f32_e32 v3, v3
	v_readfirstlane_b32 s41, v4
	v_readfirstlane_b32 s44, v3
	s_mul_i32 s45, s0, s41
	s_mul_hi_u32 s48, s0, s44
	s_mul_i32 s47, s1, s44
	s_add_i32 s45, s48, s45
	s_mul_i32 s49, s0, s44
	s_add_i32 s45, s45, s47
	s_mul_hi_u32 s47, s44, s45
	s_mul_i32 s48, s44, s45
	s_mul_hi_u32 s44, s44, s49
	s_add_u32 s44, s44, s48
	s_addc_u32 s47, 0, s47
	s_mul_hi_u32 s50, s41, s49
	s_mul_i32 s49, s41, s49
	s_add_u32 s44, s44, s49
	s_mul_hi_u32 s48, s41, s45
	s_addc_u32 s44, s47, s50
	s_addc_u32 s47, s48, 0
	s_mul_i32 s45, s41, s45
	s_add_u32 s44, s44, s45
	s_addc_u32 s45, 0, s47
	v_add_co_u32_e32 v3, vcc, s44, v3
	s_cmp_lg_u64 vcc, 0
	s_addc_u32 s41, s41, s45
	v_readfirstlane_b32 s45, v3
	s_mul_i32 s44, s0, s41
	s_mul_hi_u32 s47, s0, s45
	s_add_i32 s44, s47, s44
	s_mul_i32 s1, s1, s45
	s_add_i32 s44, s44, s1
	s_mul_i32 s0, s0, s45
	s_mul_hi_u32 s47, s41, s0
	s_mul_i32 s48, s41, s0
	s_mul_i32 s50, s45, s44
	s_mul_hi_u32 s0, s45, s0
	s_mul_hi_u32 s49, s45, s44
	s_add_u32 s0, s0, s50
	s_addc_u32 s45, 0, s49
	s_add_u32 s0, s0, s48
	s_mul_hi_u32 s1, s41, s44
	s_addc_u32 s0, s45, s47
	s_addc_u32 s1, s1, 0
	s_mul_i32 s44, s41, s44
	s_add_u32 s0, s0, s44
	s_addc_u32 s1, 0, s1
	v_add_co_u32_e32 v3, vcc, s0, v3
	s_cmp_lg_u64 vcc, 0
	s_addc_u32 s0, s41, s1
	v_readfirstlane_b32 s44, v3
	s_mul_i32 s41, s24, s0
	s_mul_hi_u32 s45, s24, s44
	s_mul_hi_u32 s1, s24, s0
	s_add_u32 s41, s45, s41
	s_addc_u32 s1, 0, s1
	s_mul_hi_u32 s47, s25, s44
	s_mul_i32 s44, s25, s44
	s_add_u32 s41, s41, s44
	s_mul_hi_u32 s45, s25, s0
	s_addc_u32 s1, s1, s47
	s_addc_u32 s41, s45, 0
	s_mul_i32 s0, s25, s0
	s_add_u32 s44, s1, s0
	s_addc_u32 s41, 0, s41
	s_mul_i32 s0, s42, s41
	s_mul_hi_u32 s1, s42, s44
	s_add_i32 s0, s1, s0
	s_mul_i32 s1, s43, s44
	s_add_i32 s45, s0, s1
	s_mul_i32 s1, s42, s44
	v_mov_b32_e32 v3, s1
	s_sub_i32 s0, s25, s45
	v_sub_co_u32_e32 v3, vcc, s24, v3
	s_cmp_lg_u64 vcc, 0
	s_subb_u32 s47, s0, s43
	v_subrev_co_u32_e64 v4, s[0:1], s42, v3
	s_cmp_lg_u64 s[0:1], 0
	s_subb_u32 s0, s47, 0
	s_cmp_ge_u32 s0, s43
	v_readfirstlane_b32 s47, v4
	s_cselect_b32 s1, -1, 0
	s_cmp_ge_u32 s47, s42
	s_cselect_b32 s47, -1, 0
	s_cmp_eq_u32 s0, s43
	s_cselect_b32 s0, s47, s1
	s_add_u32 s1, s44, 1
	s_addc_u32 s47, s41, 0
	s_add_u32 s48, s44, 2
	s_addc_u32 s49, s41, 0
	s_cmp_lg_u32 s0, 0
	s_cselect_b32 s0, s48, s1
	s_cselect_b32 s1, s49, s47
	s_cmp_lg_u64 vcc, 0
	s_subb_u32 s45, s25, s45
	s_cmp_ge_u32 s45, s43
	v_readfirstlane_b32 s48, v3
	s_cselect_b32 s47, -1, 0
	s_cmp_ge_u32 s48, s42
	s_cselect_b32 s48, -1, 0
	s_cmp_eq_u32 s45, s43
	s_cselect_b32 s45, s48, s47
	s_cmp_lg_u32 s45, 0
	s_cselect_b32 s1, s1, s41
	s_cselect_b32 s0, s0, s44
	s_cbranch_execnz .LBB0_7
.LBB0_6:                                ;   in Loop: Header=BB0_4 Depth=1
	v_cvt_f32_u32_e32 v3, s42
	s_sub_i32 s0, 0, s42
	v_rcp_iflag_f32_e32 v3, v3
	v_mul_f32_e32 v3, 0x4f7ffffe, v3
	v_cvt_u32_f32_e32 v3, v3
	v_readfirstlane_b32 s1, v3
	s_mul_i32 s0, s0, s1
	s_mul_hi_u32 s0, s1, s0
	s_add_i32 s1, s1, s0
	s_mul_hi_u32 s0, s24, s1
	s_mul_i32 s41, s0, s42
	s_sub_i32 s41, s24, s41
	s_add_i32 s1, s0, 1
	s_sub_i32 s44, s41, s42
	s_cmp_ge_u32 s41, s42
	s_cselect_b32 s0, s1, s0
	s_cselect_b32 s41, s44, s41
	s_add_i32 s1, s0, 1
	s_cmp_ge_u32 s41, s42
	s_cselect_b32 s0, s1, s0
	s_mov_b32 s1, s40
.LBB0_7:                                ;   in Loop: Header=BB0_4 Depth=1
	s_mul_i32 s29, s42, s29
	s_mul_hi_u32 s41, s42, s28
	s_add_i32 s29, s41, s29
	s_mul_i32 s41, s43, s28
	s_add_i32 s29, s29, s41
	s_mul_i32 s41, s0, s43
	s_mul_hi_u32 s43, s0, s42
	s_load_dwordx2 s[44:45], s[34:35], 0x0
	s_add_i32 s41, s43, s41
	s_mul_i32 s43, s1, s42
	s_mul_i32 s28, s42, s28
	s_add_i32 s41, s41, s43
	s_mul_i32 s42, s0, s42
	s_sub_u32 s42, s24, s42
	s_subb_u32 s41, s25, s41
	s_waitcnt lgkmcnt(0)
	s_mul_i32 s24, s44, s41
	s_mul_hi_u32 s25, s44, s42
	s_add_i32 s43, s25, s24
	s_load_dwordx2 s[24:25], s[4:5], 0x0
	s_mul_i32 s45, s45, s42
	s_add_i32 s43, s43, s45
	s_mul_i32 s44, s44, s42
	s_add_u32 s23, s44, s23
	s_addc_u32 s46, s43, s46
	s_waitcnt lgkmcnt(0)
	s_mul_i32 s41, s24, s41
	s_mul_hi_u32 s43, s24, s42
	s_add_i32 s41, s43, s41
	s_mul_i32 s25, s25, s42
	s_add_i32 s41, s41, s25
	s_mul_i32 s24, s24, s42
	s_add_u32 s9, s24, s9
	s_addc_u32 s11, s41, s11
	s_add_u32 s38, s38, 1
	s_addc_u32 s39, s39, 0
	;; [unrolled: 2-line block ×4, first 2 shown]
	v_cmp_ge_u64_e32 vcc, s[38:39], v[1:2]
	s_add_u32 s36, s36, 8
	s_addc_u32 s37, s37, 0
	s_cbranch_vccnz .LBB0_10
; %bb.8:                                ;   in Loop: Header=BB0_4 Depth=1
	s_mov_b64 s[24:25], s[0:1]
	s_branch .LBB0_4
.LBB0_9:                                ;   in Loop: Header=BB0_4 Depth=1
                                        ; implicit-def: $sgpr0_sgpr1
	s_branch .LBB0_6
.LBB0_10:
	v_mov_b32_e32 v1, s28
	v_mov_b32_e32 v2, s29
	v_cmp_lt_u64_e32 vcc, s[6:7], v[1:2]
	s_mov_b64 s[24:25], 0
	s_cbranch_vccnz .LBB0_12
; %bb.11:
	v_cvt_f32_u32_e32 v1, s28
	s_sub_i32 s0, 0, s28
	v_rcp_iflag_f32_e32 v1, v1
	v_mul_f32_e32 v1, 0x4f7ffffe, v1
	v_cvt_u32_f32_e32 v1, v1
	v_readfirstlane_b32 s1, v1
	s_mul_i32 s0, s0, s1
	s_mul_hi_u32 s0, s1, s0
	s_add_i32 s1, s1, s0
	s_mul_hi_u32 s0, s6, s1
	s_mul_i32 s4, s0, s28
	s_sub_i32 s4, s6, s4
	s_add_i32 s1, s0, 1
	s_sub_i32 s5, s4, s28
	s_cmp_ge_u32 s4, s28
	s_cselect_b32 s0, s1, s0
	s_cselect_b32 s4, s5, s4
	s_add_i32 s1, s0, 1
	s_cmp_ge_u32 s4, s28
	s_cselect_b32 s24, s1, s0
.LBB0_12:
	s_lshl_b64 s[0:1], s[30:31], 3
	s_add_u32 s2, s2, s0
	s_addc_u32 s3, s3, s1
	s_load_dword s2, s[2:3], 0x0
	v_mul_u32_u24_e32 v1, 0xaab, v0
	v_lshrrev_b32_e32 v30, 16, v1
	v_mul_lo_u16_e32 v1, 24, v30
	v_sub_u16_e32 v29, v0, v1
	s_waitcnt lgkmcnt(0)
	s_mul_i32 s2, s2, s24
	s_add_i32 s11, s2, s23
	s_add_u32 s6, s18, s0
	s_addc_u32 s7, s19, s1
	s_add_u32 s0, s33, 24
	v_mov_b32_e32 v1, s16
	s_addc_u32 s1, s21, 0
	v_mov_b32_e32 v2, s17
	v_cmp_le_u64_e32 vcc, s[0:1], v[1:2]
	s_movk_i32 s0, 0x11f
	v_cmp_lt_u32_e64 s[4:5], s0, v0
	v_mov_b32_e32 v2, s21
	v_add_co_u32_e64 v1, s[0:1], s33, v29
	v_addc_co_u32_e64 v2, s[0:1], 0, v2, s[0:1]
	s_movk_i32 s0, 0x120
	v_cmp_gt_u32_e64 s[2:3], s0, v0
	v_cmp_gt_u64_e64 s[0:1], s[16:17], v[1:2]
	v_cndmask_b32_e64 v4, 0, 1, s[2:3]
	v_cndmask_b32_e64 v1, 0, 1, s[0:1]
	s_or_b64 s[4:5], s[4:5], vcc
	v_cndmask_b32_e64 v1, v1, v4, s[4:5]
	v_and_b32_e32 v1, 1, v1
	v_cmp_eq_u32_e64 s[4:5], 1, v1
	v_add_u32_e32 v1, 12, v30
	v_mul_lo_u32 v25, s22, v29
	v_mul_lo_u32 v1, s20, v1
	;; [unrolled: 1-line block ×3, first 2 shown]
	s_lshl_b32 s11, s11, 4
	s_mov_b32 s19, 0x20000
	v_add_lshl_u32 v1, v25, v1, 4
	v_cndmask_b32_e64 v10, -1, v1, s[4:5]
	v_add_u32_e32 v1, 24, v30
	v_mul_lo_u32 v11, s20, v1
	v_add_u32_e32 v1, 36, v30
	v_mul_lo_u32 v12, s20, v1
	v_add_lshl_u32 v2, v25, v3, 4
	v_cndmask_b32_e64 v9, -1, v2, s[4:5]
	s_mov_b32 s18, -2
	s_mov_b32 s16, s12
	s_mov_b32 s17, s13
	buffer_load_dwordx4 v[1:4], v9, s[16:19], s11 offen
	buffer_load_dwordx4 v[5:8], v10, s[16:19], s11 offen
	v_add_lshl_u32 v9, v25, v11, 4
	v_cndmask_b32_e64 v17, -1, v9, s[4:5]
	v_add_lshl_u32 v9, v25, v12, 4
	v_cndmask_b32_e64 v18, -1, v9, s[4:5]
	v_add_u32_e32 v9, 48, v30
	v_mul_lo_u32 v19, s20, v9
	v_add_u32_e32 v9, 60, v30
	v_mul_lo_u32 v20, s20, v9
	buffer_load_dwordx4 v[9:12], v17, s[16:19], s11 offen
	buffer_load_dwordx4 v[13:16], v18, s[16:19], s11 offen
	v_add_u32_e32 v18, 0x48, v30
	v_mul_lo_u32 v27, s20, v18
	v_add_lshl_u32 v17, v25, v19, 4
	v_cndmask_b32_e64 v26, -1, v17, s[4:5]
	v_add_lshl_u32 v17, v25, v20, 4
	v_add_lshl_u32 v25, v25, v27, 4
	v_cndmask_b32_e64 v28, -1, v17, s[4:5]
	v_cndmask_b32_e64 v25, -1, v25, s[4:5]
	buffer_load_dwordx4 v[21:24], v26, s[16:19], s11 offen
	buffer_load_dwordx4 v[17:20], v28, s[16:19], s11 offen
	s_load_dwordx2 s[4:5], s[6:7], 0x0
	buffer_load_dwordx4 v[25:28], v25, s[16:19], s11 offen
	v_lshlrev_b32_e32 v31, 4, v29
	s_and_saveexec_b64 s[6:7], s[2:3]
	s_cbranch_execz .LBB0_14
; %bb.13:
	s_waitcnt vmcnt(0)
	v_add_f64 v[32:33], v[7:8], v[27:28]
	v_add_f64 v[36:37], v[11:12], v[19:20]
	;; [unrolled: 1-line block ×4, first 2 shown]
	v_add_f64 v[5:6], v[5:6], -v[25:26]
	v_add_f64 v[7:8], v[7:8], -v[27:28]
	v_add_f64 v[25:26], v[15:16], v[23:24]
	v_add_f64 v[27:28], v[13:14], v[21:22]
	v_add_f64 v[15:16], v[23:24], -v[15:16]
	v_add_f64 v[40:41], v[36:37], v[32:33]
	v_add_f64 v[9:10], v[9:10], -v[17:18]
	v_add_f64 v[42:43], v[38:39], v[34:35]
	v_add_f64 v[11:12], v[11:12], -v[19:20]
	v_add_f64 v[13:14], v[21:22], -v[13:14]
	v_add_f64 v[17:18], v[32:33], -v[25:26]
	;; [unrolled: 1-line block ×3, first 2 shown]
	s_mov_b32 s2, 0x37e14327
	v_add_f64 v[19:20], v[25:26], v[40:41]
	v_add_f64 v[25:26], v[25:26], -v[36:37]
	v_add_f64 v[21:22], v[27:28], v[42:43]
	v_add_f64 v[27:28], v[27:28], -v[38:39]
	s_mov_b32 s3, 0x3fe948f6
	v_mul_f64 v[17:18], v[17:18], s[2:3]
	v_mul_f64 v[23:24], v[23:24], s[2:3]
	s_mov_b32 s2, 0x36b3c0b5
	v_add_f64 v[32:33], v[36:37], -v[32:33]
	v_add_f64 v[34:35], v[38:39], -v[34:35]
	s_mov_b32 s3, 0x3fac98ee
	v_mul_f64 v[36:37], v[25:26], s[2:3]
	v_mul_f64 v[40:41], v[27:28], s[2:3]
	v_add_f64 v[42:43], v[13:14], v[9:10]
	s_mov_b32 s13, 0xbfe77f67
	s_mov_b32 s12, 0x5476071b
	v_fma_f64 v[38:39], v[32:33], s[12:13], -v[17:18]
	v_fma_f64 v[44:45], v[34:35], s[12:13], -v[23:24]
	s_mov_b32 s13, 0x3fe77f67
	v_fma_f64 v[32:33], v[32:33], s[12:13], -v[36:37]
	v_add_f64 v[36:37], v[15:16], v[11:12]
	v_fma_f64 v[34:35], v[34:35], s[12:13], -v[40:41]
	v_add_f64 v[40:41], v[42:43], v[5:6]
	v_add_f64 v[42:43], v[13:14], -v[9:10]
	v_add_f64 v[9:10], v[9:10], -v[5:6]
	;; [unrolled: 1-line block ×3, first 2 shown]
	s_mov_b32 s12, 0xe976ee23
	s_mov_b32 s13, 0x3fe11646
	v_add_f64 v[13:14], v[36:37], v[7:8]
	v_add_f64 v[36:37], v[15:16], -v[11:12]
	v_add_f64 v[11:12], v[11:12], -v[7:8]
	v_mul_f64 v[42:43], v[42:43], s[12:13]
	v_add_f64 v[7:8], v[7:8], -v[15:16]
	v_fma_f64 v[15:16], v[25:26], s[2:3], v[17:18]
	v_fma_f64 v[17:18], v[27:28], s[2:3], v[23:24]
	s_mov_b32 s2, 0x429ad128
	v_add_f64 v[3:4], v[3:4], v[19:20]
	v_mul_f64 v[23:24], v[36:37], s[12:13]
	v_add_f64 v[1:2], v[1:2], v[21:22]
	s_mov_b32 s3, 0xbfebfeb5
	s_mov_b32 s13, 0xbfd5d0dc
	;; [unrolled: 1-line block ×3, first 2 shown]
	v_mul_f64 v[25:26], v[9:10], s[2:3]
	v_fma_f64 v[9:10], v[9:10], s[2:3], -v[42:43]
	v_fma_f64 v[27:28], v[5:6], s[12:13], v[42:43]
	v_mul_f64 v[42:43], v[11:12], s[2:3]
	v_fma_f64 v[11:12], v[11:12], s[2:3], -v[23:24]
	s_mov_b32 s2, 0xaaaaaaaa
	s_mov_b32 s3, 0xbff2aaaa
	v_fma_f64 v[36:37], v[7:8], s[12:13], v[23:24]
	s_mov_b32 s13, 0x3fd5d0dc
	v_fma_f64 v[19:20], v[19:20], s[2:3], v[3:4]
	v_fma_f64 v[21:22], v[21:22], s[2:3], v[1:2]
	v_fma_f64 v[5:6], v[5:6], s[12:13], -v[25:26]
	v_fma_f64 v[23:24], v[7:8], s[12:13], -v[42:43]
	s_mov_b32 s2, 0x37c3f68c
	s_mov_b32 s3, 0xbfdc38aa
	v_fma_f64 v[25:26], v[40:41], s[2:3], v[27:28]
	v_fma_f64 v[36:37], v[13:14], s[2:3], v[36:37]
	v_add_f64 v[42:43], v[15:16], v[19:20]
	v_add_f64 v[46:47], v[17:18], v[21:22]
	v_fma_f64 v[27:28], v[40:41], s[2:3], v[5:6]
	v_add_f64 v[38:39], v[38:39], v[19:20]
	v_add_f64 v[44:45], v[44:45], v[21:22]
	v_fma_f64 v[48:49], v[13:14], s[2:3], v[23:24]
	v_fma_f64 v[9:10], v[40:41], s[2:3], v[9:10]
	v_add_f64 v[32:33], v[32:33], v[19:20]
	v_add_f64 v[34:35], v[34:35], v[21:22]
	v_fma_f64 v[40:41], v[13:14], s[2:3], v[11:12]
	v_add_f64 v[19:20], v[42:43], -v[25:26]
	v_add_f64 v[17:18], v[36:37], v[46:47]
	v_add_f64 v[23:24], v[38:39], -v[27:28]
	v_add_f64 v[21:22], v[48:49], v[44:45]
	v_add_f64 v[15:16], v[25:26], v[42:43]
	v_add_f64 v[7:8], v[32:33], -v[9:10]
	v_add_f64 v[11:12], v[9:10], v[32:33]
	v_add_f64 v[9:10], v[34:35], -v[40:41]
	v_add_f64 v[5:6], v[40:41], v[34:35]
	v_add_f64 v[27:28], v[27:28], v[38:39]
	v_add_f64 v[25:26], v[44:45], -v[48:49]
	v_add_f64 v[13:14], v[46:47], -v[36:37]
	v_mul_u32_u24_e32 v32, 0xa80, v30
	v_add3_u32 v32, 0, v32, v31
	ds_write_b128 v32, v[1:4]
	ds_write_b128 v32, v[17:20] offset:384
	ds_write_b128 v32, v[21:24] offset:768
	;; [unrolled: 1-line block ×6, first 2 shown]
.LBB0_14:
	s_or_b64 exec, exec, s[6:7]
	s_waitcnt vmcnt(6)
	v_mul_lo_u16_e32 v3, 37, v30
	v_lshrrev_b16_e32 v1, 8, v3
	v_mul_lo_u16_e32 v2, 7, v1
	v_sub_u16_e32 v2, v30, v2
	v_mov_b32_e32 v4, 4
	v_lshlrev_b32_sdwa v4, v4, v2 dst_sel:DWORD dst_unused:UNUSED_PAD src0_sel:DWORD src1_sel:BYTE_0
	s_waitcnt vmcnt(0) lgkmcnt(0)
	s_barrier
	global_load_dwordx4 v[4:7], v4, s[26:27]
	v_mov_b32_e32 v8, 0x206
	v_mad_legacy_u16 v8, v30, 37, v8
	v_mov_b32_e32 v12, 0x40c
	v_lshrrev_b16_e32 v20, 8, v8
	v_mad_legacy_u16 v12, v30, 37, v12
	v_mul_lo_u16_e32 v8, 7, v20
	v_lshrrev_b16_e32 v41, 8, v12
	v_sub_u16_e32 v8, v30, v8
	v_mul_lo_u16_e32 v12, 7, v41
	v_add_u16_e32 v8, 14, v8
	v_sub_u16_e32 v12, v30, v12
	v_and_b32_e32 v40, 0xff, v8
	v_add_u16_e32 v12, 28, v12
	v_lshlrev_b32_e32 v8, 4, v40
	global_load_dwordx4 v[8:11], v8, s[26:27]
	v_and_b32_e32 v42, 0xff, v12
	v_lshlrev_b32_e32 v12, 4, v42
	global_load_dwordx4 v[12:15], v12, s[26:27]
	v_mul_u32_u24_e32 v16, 0x180, v30
	v_add3_u32 v21, 0, v16, v31
	ds_read_b128 v[16:19], v21 offset:16128
	ds_read_b128 v[23:26], v21 offset:10752
	;; [unrolled: 1-line block ×4, first 2 shown]
	v_lshrrev_b16_e32 v22, 9, v3
	v_mul_lo_u16_e32 v22, 14, v22
	v_sub_u16_e32 v22, v30, v22
	v_mad_legacy_u16 v30, v1, 14, v2
	s_movk_i32 s2, 0x180
	v_mad_u32_u24 v20, v20, 14, v40
	v_mad_u32_u24 v40, v41, 14, v42
	v_mul_u32_u24_sdwa v30, v30, s2 dst_sel:DWORD dst_unused:UNUSED_PAD src0_sel:BYTE_0 src1_sel:DWORD
	v_add3_u32 v30, 0, v30, v31
	s_movk_i32 s6, 0x187
	v_mul_u32_u24_sdwa v0, v0, s6 dst_sel:DWORD dst_unused:UNUSED_PAD src0_sel:WORD_0 src1_sel:DWORD
	v_lshrrev_b32_e32 v0, 17, v0
	v_mul_lo_u16_e32 v0, 0x54, v0
	v_add_u32_sdwa v0, v22, v0 dst_sel:DWORD dst_unused:UNUSED_PAD src0_sel:BYTE_0 src1_sel:DWORD
	v_add_u32_e32 v41, 42, v0
	v_add_u32_e32 v42, 56, v0
	s_or_b64 vcc, vcc, s[0:1]
	s_mul_i32 s2, s4, s24
	s_mov_b32 s4, 0xe8584caa
	s_mov_b32 s5, 0xbfebb67a
	;; [unrolled: 1-line block ×3, first 2 shown]
	s_add_i32 s7, s2, s9
	s_mov_b32 s2, s4
	s_mov_b32 s16, s14
	;; [unrolled: 1-line block ×3, first 2 shown]
	s_lshl_b32 s6, s7, 4
	s_waitcnt vmcnt(2) lgkmcnt(3)
	v_mul_f64 v[27:28], v[18:19], v[6:7]
	v_mul_f64 v[6:7], v[16:17], v[6:7]
	v_fma_f64 v[16:17], v[16:17], v[4:5], v[27:28]
	v_fma_f64 v[18:19], v[18:19], v[4:5], -v[6:7]
	s_waitcnt vmcnt(1) lgkmcnt(1)
	v_mul_f64 v[4:5], v[34:35], v[10:11]
	v_mul_f64 v[6:7], v[32:33], v[10:11]
	v_mov_b32_e32 v11, 5
	s_waitcnt vmcnt(0) lgkmcnt(0)
	v_mul_f64 v[1:2], v[38:39], v[14:15]
	v_mul_f64 v[14:15], v[36:37], v[14:15]
	v_mul_u32_u24_sdwa v11, v22, v11 dst_sel:DWORD dst_unused:UNUSED_PAD src0_sel:BYTE_0 src1_sel:DWORD
	v_lshlrev_b32_e32 v43, 4, v11
	v_fma_f64 v[27:28], v[32:33], v[8:9], v[4:5]
	v_fma_f64 v[32:33], v[34:35], v[8:9], -v[6:7]
	ds_read_b128 v[3:6], v21
	ds_read_b128 v[7:10], v21 offset:5376
	v_fma_f64 v[1:2], v[36:37], v[12:13], v[1:2]
	v_fma_f64 v[34:35], v[38:39], v[12:13], -v[14:15]
	s_waitcnt lgkmcnt(0)
	v_add_f64 v[11:12], v[3:4], -v[16:17]
	v_add_f64 v[13:14], v[5:6], -v[18:19]
	;; [unrolled: 1-line block ×4, first 2 shown]
	v_mul_u32_u24_e32 v19, 0x180, v20
	v_add_f64 v[32:33], v[23:24], -v[1:2]
	v_add_f64 v[34:35], v[25:26], -v[34:35]
	s_barrier
	v_fma_f64 v[1:2], v[3:4], 2.0, -v[11:12]
	v_fma_f64 v[3:4], v[5:6], 2.0, -v[13:14]
	;; [unrolled: 1-line block ×4, first 2 shown]
	v_mul_u32_u24_e32 v9, 0x180, v40
	v_fma_f64 v[23:24], v[23:24], 2.0, -v[32:33]
	v_fma_f64 v[25:26], v[25:26], 2.0, -v[34:35]
	v_add3_u32 v10, 0, v19, v31
	v_add3_u32 v9, 0, v9, v31
	ds_write_b128 v30, v[11:14] offset:2688
	ds_write_b128 v30, v[1:4]
	ds_write_b128 v10, v[15:18] offset:2688
	ds_write_b128 v10, v[5:8]
	ds_write_b128 v9, v[23:26]
	ds_write_b128 v9, v[32:35] offset:2688
	s_waitcnt lgkmcnt(0)
	s_barrier
	global_load_dwordx4 v[17:20], v43, s[26:27] offset:128
	global_load_dwordx4 v[9:12], v43, s[26:27] offset:160
	;; [unrolled: 1-line block ×5, first 2 shown]
	ds_read_b128 v[23:26], v21 offset:10752
	v_mul_lo_u32 v37, s10, v29
	ds_read_b128 v[27:30], v21 offset:16128
	ds_read_b128 v[31:34], v21 offset:21504
	v_add_u32_e32 v39, 14, v0
	v_mul_lo_u32 v38, s8, v0
	v_add_u32_e32 v40, 28, v0
	v_add_u32_e32 v0, 0x46, v0
	v_mul_lo_u32 v0, s8, v0
	v_add_lshl_u32 v43, v37, v0, 4
	s_waitcnt vmcnt(4) lgkmcnt(2)
	v_mul_f64 v[35:36], v[25:26], v[19:20]
	v_mul_f64 v[19:20], v[23:24], v[19:20]
	v_fma_f64 v[22:23], v[23:24], v[17:18], v[35:36]
	v_fma_f64 v[24:25], v[25:26], v[17:18], -v[19:20]
	ds_read_b128 v[17:20], v21 offset:26880
	s_waitcnt vmcnt(3) lgkmcnt(1)
	v_mul_f64 v[35:36], v[33:34], v[11:12]
	v_mul_f64 v[11:12], v[31:32], v[11:12]
	v_mul_lo_u32 v26, s8, v39
	v_mul_lo_u32 v39, s8, v40
	;; [unrolled: 1-line block ×4, first 2 shown]
	v_fma_f64 v[31:32], v[31:32], v[9:10], v[35:36]
	v_fma_f64 v[33:34], v[33:34], v[9:10], -v[11:12]
	s_waitcnt vmcnt(2)
	v_mul_f64 v[9:10], v[27:28], v[7:8]
	v_mul_f64 v[7:8], v[29:30], v[7:8]
	s_waitcnt vmcnt(1) lgkmcnt(0)
	v_mul_f64 v[35:36], v[17:18], v[15:16]
	v_mul_f64 v[15:16], v[19:20], v[15:16]
	v_add_lshl_u32 v11, v37, v38, 4
	v_add_lshl_u32 v38, v37, v26, 4
	v_cndmask_b32_e32 v42, -1, v11, vcc
	v_add_lshl_u32 v41, v37, v41, 4
	v_fma_f64 v[29:30], v[29:30], v[5:6], -v[9:10]
	v_fma_f64 v[26:27], v[27:28], v[5:6], v[7:8]
	ds_read_b128 v[5:8], v21 offset:5376
	ds_read_b128 v[9:12], v21
	v_fma_f64 v[19:20], v[19:20], v[13:14], -v[35:36]
	v_fma_f64 v[13:14], v[17:18], v[13:14], v[15:16]
	v_add_lshl_u32 v28, v37, v39, 4
	s_waitcnt vmcnt(0) lgkmcnt(1)
	v_mul_f64 v[15:16], v[7:8], v[3:4]
	v_mul_f64 v[3:4], v[5:6], v[3:4]
	v_add_lshl_u32 v17, v37, v40, 4
	v_cndmask_b32_e32 v44, -1, v38, vcc
	v_cndmask_b32_e32 v45, -1, v28, vcc
	;; [unrolled: 1-line block ×3, first 2 shown]
	v_add_f64 v[37:38], v[26:27], v[13:14]
	v_add_f64 v[39:40], v[26:27], -v[13:14]
	v_fma_f64 v[5:6], v[5:6], v[1:2], v[15:16]
	v_fma_f64 v[0:1], v[7:8], v[1:2], -v[3:4]
	v_add_f64 v[2:3], v[29:30], v[19:20]
	v_add_f64 v[7:8], v[22:23], v[31:32]
	;; [unrolled: 1-line block ×3, first 2 shown]
	s_waitcnt lgkmcnt(0)
	v_add_f64 v[17:18], v[9:10], v[22:23]
	v_add_f64 v[35:36], v[11:12], v[24:25]
	v_add_f64 v[21:22], v[22:23], -v[31:32]
	v_add_f64 v[26:27], v[5:6], v[26:27]
	v_fma_f64 v[4:5], v[37:38], -0.5, v[5:6]
	v_fma_f64 v[2:3], v[2:3], -0.5, v[0:1]
	v_add_f64 v[0:1], v[0:1], v[29:30]
	v_add_f64 v[28:29], v[29:30], -v[19:20]
	v_fma_f64 v[7:8], v[7:8], -0.5, v[9:10]
	v_fma_f64 v[9:10], v[15:16], -0.5, v[11:12]
	v_add_f64 v[23:24], v[24:25], -v[33:34]
	v_add_f64 v[13:14], v[26:27], v[13:14]
	v_add_f64 v[15:16], v[17:18], v[31:32]
	v_fma_f64 v[11:12], v[39:40], s[2:3], v[2:3]
	v_fma_f64 v[2:3], v[39:40], s[4:5], v[2:3]
	v_add_f64 v[19:20], v[0:1], v[19:20]
	v_fma_f64 v[0:1], v[28:29], s[4:5], v[4:5]
	v_fma_f64 v[4:5], v[28:29], s[2:3], v[4:5]
	;; [unrolled: 3-line block ×3, first 2 shown]
	v_mul_f64 v[25:26], v[11:12], s[4:5]
	v_mul_f64 v[11:12], v[11:12], 0.5
	v_mul_f64 v[29:30], v[2:3], s[4:5]
	v_mul_f64 v[2:3], v[2:3], -0.5
	v_fma_f64 v[33:34], v[21:22], s[4:5], v[9:10]
	v_fma_f64 v[23:24], v[23:24], s[2:3], v[7:8]
	v_add_f64 v[6:7], v[17:18], -v[19:20]
	v_fma_f64 v[21:22], v[0:1], 0.5, v[25:26]
	v_fma_f64 v[25:26], v[0:1], s[2:3], v[11:12]
	v_fma_f64 v[29:30], v[4:5], -0.5, v[29:30]
	v_fma_f64 v[35:36], v[4:5], s[2:3], v[2:3]
	v_add_f64 v[0:1], v[15:16], v[13:14]
	v_add_f64 v[2:3], v[17:18], v[19:20]
	v_add_f64 v[4:5], v[15:16], -v[13:14]
	v_add_f64 v[8:9], v[27:28], v[21:22]
	v_add_f64 v[10:11], v[31:32], v[25:26]
	;; [unrolled: 1-line block ×4, first 2 shown]
	v_add_f64 v[12:13], v[27:28], -v[21:22]
	v_add_f64 v[14:15], v[31:32], -v[25:26]
	v_add_f64 v[20:21], v[23:24], -v[29:30]
	v_add_f64 v[22:23], v[33:34], -v[35:36]
	v_cndmask_b32_e32 v24, -1, v41, vcc
	v_cndmask_b32_e32 v25, -1, v43, vcc
	buffer_store_dwordx4 v[0:3], v42, s[16:19], s6 offen
	buffer_store_dwordx4 v[8:11], v44, s[16:19], s6 offen
	;; [unrolled: 1-line block ×6, first 2 shown]
	s_endpgm
	.section	.rodata,"a",@progbits
	.p2align	6, 0x0
	.amdhsa_kernel fft_rtc_back_len84_factors_7_2_6_wgs_336_tpt_14_dp_op_CI_CI_sbcc_dirReg_intrinsicReadWrite
		.amdhsa_group_segment_fixed_size 0
		.amdhsa_private_segment_fixed_size 0
		.amdhsa_kernarg_size 112
		.amdhsa_user_sgpr_count 6
		.amdhsa_user_sgpr_private_segment_buffer 1
		.amdhsa_user_sgpr_dispatch_ptr 0
		.amdhsa_user_sgpr_queue_ptr 0
		.amdhsa_user_sgpr_kernarg_segment_ptr 1
		.amdhsa_user_sgpr_dispatch_id 0
		.amdhsa_user_sgpr_flat_scratch_init 0
		.amdhsa_user_sgpr_private_segment_size 0
		.amdhsa_uses_dynamic_stack 0
		.amdhsa_system_sgpr_private_segment_wavefront_offset 0
		.amdhsa_system_sgpr_workgroup_id_x 1
		.amdhsa_system_sgpr_workgroup_id_y 0
		.amdhsa_system_sgpr_workgroup_id_z 0
		.amdhsa_system_sgpr_workgroup_info 0
		.amdhsa_system_vgpr_workitem_id 0
		.amdhsa_next_free_vgpr 50
		.amdhsa_next_free_sgpr 51
		.amdhsa_reserve_vcc 1
		.amdhsa_reserve_flat_scratch 0
		.amdhsa_float_round_mode_32 0
		.amdhsa_float_round_mode_16_64 0
		.amdhsa_float_denorm_mode_32 3
		.amdhsa_float_denorm_mode_16_64 3
		.amdhsa_dx10_clamp 1
		.amdhsa_ieee_mode 1
		.amdhsa_fp16_overflow 0
		.amdhsa_exception_fp_ieee_invalid_op 0
		.amdhsa_exception_fp_denorm_src 0
		.amdhsa_exception_fp_ieee_div_zero 0
		.amdhsa_exception_fp_ieee_overflow 0
		.amdhsa_exception_fp_ieee_underflow 0
		.amdhsa_exception_fp_ieee_inexact 0
		.amdhsa_exception_int_div_zero 0
	.end_amdhsa_kernel
	.text
.Lfunc_end0:
	.size	fft_rtc_back_len84_factors_7_2_6_wgs_336_tpt_14_dp_op_CI_CI_sbcc_dirReg_intrinsicReadWrite, .Lfunc_end0-fft_rtc_back_len84_factors_7_2_6_wgs_336_tpt_14_dp_op_CI_CI_sbcc_dirReg_intrinsicReadWrite
                                        ; -- End function
	.section	.AMDGPU.csdata,"",@progbits
; Kernel info:
; codeLenInByte = 4432
; NumSgprs: 55
; NumVgprs: 50
; ScratchSize: 0
; MemoryBound: 0
; FloatMode: 240
; IeeeMode: 1
; LDSByteSize: 0 bytes/workgroup (compile time only)
; SGPRBlocks: 6
; VGPRBlocks: 12
; NumSGPRsForWavesPerEU: 55
; NumVGPRsForWavesPerEU: 50
; Occupancy: 4
; WaveLimiterHint : 0
; COMPUTE_PGM_RSRC2:SCRATCH_EN: 0
; COMPUTE_PGM_RSRC2:USER_SGPR: 6
; COMPUTE_PGM_RSRC2:TRAP_HANDLER: 0
; COMPUTE_PGM_RSRC2:TGID_X_EN: 1
; COMPUTE_PGM_RSRC2:TGID_Y_EN: 0
; COMPUTE_PGM_RSRC2:TGID_Z_EN: 0
; COMPUTE_PGM_RSRC2:TIDIG_COMP_CNT: 0
	.type	__hip_cuid_7d89a03ae1246e98,@object ; @__hip_cuid_7d89a03ae1246e98
	.section	.bss,"aw",@nobits
	.globl	__hip_cuid_7d89a03ae1246e98
__hip_cuid_7d89a03ae1246e98:
	.byte	0                               ; 0x0
	.size	__hip_cuid_7d89a03ae1246e98, 1

	.ident	"AMD clang version 19.0.0git (https://github.com/RadeonOpenCompute/llvm-project roc-6.4.0 25133 c7fe45cf4b819c5991fe208aaa96edf142730f1d)"
	.section	".note.GNU-stack","",@progbits
	.addrsig
	.addrsig_sym __hip_cuid_7d89a03ae1246e98
	.amdgpu_metadata
---
amdhsa.kernels:
  - .args:
      - .actual_access:  read_only
        .address_space:  global
        .offset:         0
        .size:           8
        .value_kind:     global_buffer
      - .address_space:  global
        .offset:         8
        .size:           8
        .value_kind:     global_buffer
      - .offset:         16
        .size:           8
        .value_kind:     by_value
      - .actual_access:  read_only
        .address_space:  global
        .offset:         24
        .size:           8
        .value_kind:     global_buffer
      - .actual_access:  read_only
        .address_space:  global
        .offset:         32
        .size:           8
        .value_kind:     global_buffer
      - .actual_access:  read_only
        .address_space:  global
        .offset:         40
        .size:           8
        .value_kind:     global_buffer
      - .offset:         48
        .size:           8
        .value_kind:     by_value
      - .actual_access:  read_only
        .address_space:  global
        .offset:         56
        .size:           8
        .value_kind:     global_buffer
      - .actual_access:  read_only
        .address_space:  global
        .offset:         64
        .size:           8
        .value_kind:     global_buffer
      - .offset:         72
        .size:           4
        .value_kind:     by_value
      - .actual_access:  read_only
        .address_space:  global
        .offset:         80
        .size:           8
        .value_kind:     global_buffer
      - .actual_access:  read_only
        .address_space:  global
        .offset:         88
        .size:           8
        .value_kind:     global_buffer
      - .address_space:  global
        .offset:         96
        .size:           8
        .value_kind:     global_buffer
      - .address_space:  global
        .offset:         104
        .size:           8
        .value_kind:     global_buffer
    .group_segment_fixed_size: 0
    .kernarg_segment_align: 8
    .kernarg_segment_size: 112
    .language:       OpenCL C
    .language_version:
      - 2
      - 0
    .max_flat_workgroup_size: 336
    .name:           fft_rtc_back_len84_factors_7_2_6_wgs_336_tpt_14_dp_op_CI_CI_sbcc_dirReg_intrinsicReadWrite
    .private_segment_fixed_size: 0
    .sgpr_count:     55
    .sgpr_spill_count: 0
    .symbol:         fft_rtc_back_len84_factors_7_2_6_wgs_336_tpt_14_dp_op_CI_CI_sbcc_dirReg_intrinsicReadWrite.kd
    .uniform_work_group_size: 1
    .uses_dynamic_stack: false
    .vgpr_count:     50
    .vgpr_spill_count: 0
    .wavefront_size: 64
amdhsa.target:   amdgcn-amd-amdhsa--gfx906
amdhsa.version:
  - 1
  - 2
...

	.end_amdgpu_metadata
